;; amdgpu-corpus repo=ROCm/rocFFT kind=compiled arch=gfx906 opt=O3
	.text
	.amdgcn_target "amdgcn-amd-amdhsa--gfx906"
	.amdhsa_code_object_version 6
	.protected	fft_rtc_back_len1210_factors_2_5_11_11_wgs_110_tpt_110_halfLds_half_ip_CI_sbrr_dirReg ; -- Begin function fft_rtc_back_len1210_factors_2_5_11_11_wgs_110_tpt_110_halfLds_half_ip_CI_sbrr_dirReg
	.globl	fft_rtc_back_len1210_factors_2_5_11_11_wgs_110_tpt_110_halfLds_half_ip_CI_sbrr_dirReg
	.p2align	8
	.type	fft_rtc_back_len1210_factors_2_5_11_11_wgs_110_tpt_110_halfLds_half_ip_CI_sbrr_dirReg,@function
fft_rtc_back_len1210_factors_2_5_11_11_wgs_110_tpt_110_halfLds_half_ip_CI_sbrr_dirReg: ; @fft_rtc_back_len1210_factors_2_5_11_11_wgs_110_tpt_110_halfLds_half_ip_CI_sbrr_dirReg
; %bb.0:
	s_load_dwordx2 s[2:3], s[4:5], 0x18
	s_load_dwordx4 s[8:11], s[4:5], 0x0
	s_load_dwordx2 s[14:15], s[4:5], 0x50
	v_mul_u32_u24_e32 v1, 0x254, v0
	v_add_u32_sdwa v5, s6, v1 dst_sel:DWORD dst_unused:UNUSED_PAD src0_sel:DWORD src1_sel:WORD_1
	s_waitcnt lgkmcnt(0)
	s_load_dwordx2 s[12:13], s[2:3], 0x0
	v_cmp_lt_u64_e64 s[0:1], s[10:11], 2
	v_mov_b32_e32 v3, 0
	v_mov_b32_e32 v1, 0
	;; [unrolled: 1-line block ×3, first 2 shown]
	s_and_b64 vcc, exec, s[0:1]
	v_mov_b32_e32 v2, 0
	s_cbranch_vccnz .LBB0_8
; %bb.1:
	s_load_dwordx2 s[0:1], s[4:5], 0x10
	s_add_u32 s6, s2, 8
	s_addc_u32 s7, s3, 0
	v_mov_b32_e32 v1, 0
	v_mov_b32_e32 v2, 0
	s_waitcnt lgkmcnt(0)
	s_add_u32 s16, s0, 8
	s_addc_u32 s17, s1, 0
	s_mov_b64 s[18:19], 1
.LBB0_2:                                ; =>This Inner Loop Header: Depth=1
	s_load_dwordx2 s[20:21], s[16:17], 0x0
                                        ; implicit-def: $vgpr7_vgpr8
	s_waitcnt lgkmcnt(0)
	v_or_b32_e32 v4, s21, v6
	v_cmp_ne_u64_e32 vcc, 0, v[3:4]
	s_and_saveexec_b64 s[0:1], vcc
	s_xor_b64 s[22:23], exec, s[0:1]
	s_cbranch_execz .LBB0_4
; %bb.3:                                ;   in Loop: Header=BB0_2 Depth=1
	v_cvt_f32_u32_e32 v4, s20
	v_cvt_f32_u32_e32 v7, s21
	s_sub_u32 s0, 0, s20
	s_subb_u32 s1, 0, s21
	v_mac_f32_e32 v4, 0x4f800000, v7
	v_rcp_f32_e32 v4, v4
	v_mul_f32_e32 v4, 0x5f7ffffc, v4
	v_mul_f32_e32 v7, 0x2f800000, v4
	v_trunc_f32_e32 v7, v7
	v_mac_f32_e32 v4, 0xcf800000, v7
	v_cvt_u32_f32_e32 v7, v7
	v_cvt_u32_f32_e32 v4, v4
	v_mul_lo_u32 v8, s0, v7
	v_mul_hi_u32 v9, s0, v4
	v_mul_lo_u32 v11, s1, v4
	v_mul_lo_u32 v10, s0, v4
	v_add_u32_e32 v8, v9, v8
	v_add_u32_e32 v8, v8, v11
	v_mul_hi_u32 v9, v4, v10
	v_mul_lo_u32 v11, v4, v8
	v_mul_hi_u32 v13, v4, v8
	v_mul_hi_u32 v12, v7, v10
	v_mul_lo_u32 v10, v7, v10
	v_mul_hi_u32 v14, v7, v8
	v_add_co_u32_e32 v9, vcc, v9, v11
	v_addc_co_u32_e32 v11, vcc, 0, v13, vcc
	v_mul_lo_u32 v8, v7, v8
	v_add_co_u32_e32 v9, vcc, v9, v10
	v_addc_co_u32_e32 v9, vcc, v11, v12, vcc
	v_addc_co_u32_e32 v10, vcc, 0, v14, vcc
	v_add_co_u32_e32 v8, vcc, v9, v8
	v_addc_co_u32_e32 v9, vcc, 0, v10, vcc
	v_add_co_u32_e32 v4, vcc, v4, v8
	v_addc_co_u32_e32 v7, vcc, v7, v9, vcc
	v_mul_lo_u32 v8, s0, v7
	v_mul_hi_u32 v9, s0, v4
	v_mul_lo_u32 v10, s1, v4
	v_mul_lo_u32 v11, s0, v4
	v_add_u32_e32 v8, v9, v8
	v_add_u32_e32 v8, v8, v10
	v_mul_lo_u32 v12, v4, v8
	v_mul_hi_u32 v13, v4, v11
	v_mul_hi_u32 v14, v4, v8
	;; [unrolled: 1-line block ×3, first 2 shown]
	v_mul_lo_u32 v11, v7, v11
	v_mul_hi_u32 v9, v7, v8
	v_add_co_u32_e32 v12, vcc, v13, v12
	v_addc_co_u32_e32 v13, vcc, 0, v14, vcc
	v_mul_lo_u32 v8, v7, v8
	v_add_co_u32_e32 v11, vcc, v12, v11
	v_addc_co_u32_e32 v10, vcc, v13, v10, vcc
	v_addc_co_u32_e32 v9, vcc, 0, v9, vcc
	v_add_co_u32_e32 v8, vcc, v10, v8
	v_addc_co_u32_e32 v9, vcc, 0, v9, vcc
	v_add_co_u32_e32 v4, vcc, v4, v8
	v_addc_co_u32_e32 v9, vcc, v7, v9, vcc
	v_mad_u64_u32 v[7:8], s[0:1], v5, v9, 0
	v_mul_hi_u32 v10, v5, v4
	v_add_co_u32_e32 v11, vcc, v10, v7
	v_addc_co_u32_e32 v12, vcc, 0, v8, vcc
	v_mad_u64_u32 v[7:8], s[0:1], v6, v4, 0
	v_mad_u64_u32 v[9:10], s[0:1], v6, v9, 0
	v_add_co_u32_e32 v4, vcc, v11, v7
	v_addc_co_u32_e32 v4, vcc, v12, v8, vcc
	v_addc_co_u32_e32 v7, vcc, 0, v10, vcc
	v_add_co_u32_e32 v4, vcc, v4, v9
	v_addc_co_u32_e32 v9, vcc, 0, v7, vcc
	v_mul_lo_u32 v10, s21, v4
	v_mul_lo_u32 v11, s20, v9
	v_mad_u64_u32 v[7:8], s[0:1], s20, v4, 0
	v_add3_u32 v8, v8, v11, v10
	v_sub_u32_e32 v10, v6, v8
	v_mov_b32_e32 v11, s21
	v_sub_co_u32_e32 v7, vcc, v5, v7
	v_subb_co_u32_e64 v10, s[0:1], v10, v11, vcc
	v_subrev_co_u32_e64 v11, s[0:1], s20, v7
	v_subbrev_co_u32_e64 v10, s[0:1], 0, v10, s[0:1]
	v_cmp_le_u32_e64 s[0:1], s21, v10
	v_cndmask_b32_e64 v12, 0, -1, s[0:1]
	v_cmp_le_u32_e64 s[0:1], s20, v11
	v_cndmask_b32_e64 v11, 0, -1, s[0:1]
	v_cmp_eq_u32_e64 s[0:1], s21, v10
	v_cndmask_b32_e64 v10, v12, v11, s[0:1]
	v_add_co_u32_e64 v11, s[0:1], 2, v4
	v_addc_co_u32_e64 v12, s[0:1], 0, v9, s[0:1]
	v_add_co_u32_e64 v13, s[0:1], 1, v4
	v_addc_co_u32_e64 v14, s[0:1], 0, v9, s[0:1]
	v_subb_co_u32_e32 v8, vcc, v6, v8, vcc
	v_cmp_ne_u32_e64 s[0:1], 0, v10
	v_cmp_le_u32_e32 vcc, s21, v8
	v_cndmask_b32_e64 v10, v14, v12, s[0:1]
	v_cndmask_b32_e64 v12, 0, -1, vcc
	v_cmp_le_u32_e32 vcc, s20, v7
	v_cndmask_b32_e64 v7, 0, -1, vcc
	v_cmp_eq_u32_e32 vcc, s21, v8
	v_cndmask_b32_e32 v7, v12, v7, vcc
	v_cmp_ne_u32_e32 vcc, 0, v7
	v_cndmask_b32_e64 v7, v13, v11, s[0:1]
	v_cndmask_b32_e32 v8, v9, v10, vcc
	v_cndmask_b32_e32 v7, v4, v7, vcc
.LBB0_4:                                ;   in Loop: Header=BB0_2 Depth=1
	s_andn2_saveexec_b64 s[0:1], s[22:23]
	s_cbranch_execz .LBB0_6
; %bb.5:                                ;   in Loop: Header=BB0_2 Depth=1
	v_cvt_f32_u32_e32 v4, s20
	s_sub_i32 s22, 0, s20
	v_rcp_iflag_f32_e32 v4, v4
	v_mul_f32_e32 v4, 0x4f7ffffe, v4
	v_cvt_u32_f32_e32 v4, v4
	v_mul_lo_u32 v7, s22, v4
	v_mul_hi_u32 v7, v4, v7
	v_add_u32_e32 v4, v4, v7
	v_mul_hi_u32 v4, v5, v4
	v_mul_lo_u32 v7, v4, s20
	v_add_u32_e32 v8, 1, v4
	v_sub_u32_e32 v7, v5, v7
	v_subrev_u32_e32 v9, s20, v7
	v_cmp_le_u32_e32 vcc, s20, v7
	v_cndmask_b32_e32 v7, v7, v9, vcc
	v_cndmask_b32_e32 v4, v4, v8, vcc
	v_add_u32_e32 v8, 1, v4
	v_cmp_le_u32_e32 vcc, s20, v7
	v_cndmask_b32_e32 v7, v4, v8, vcc
	v_mov_b32_e32 v8, v3
.LBB0_6:                                ;   in Loop: Header=BB0_2 Depth=1
	s_or_b64 exec, exec, s[0:1]
	v_mul_lo_u32 v4, v8, s20
	v_mul_lo_u32 v11, v7, s21
	v_mad_u64_u32 v[9:10], s[0:1], v7, s20, 0
	s_load_dwordx2 s[0:1], s[6:7], 0x0
	s_add_u32 s18, s18, 1
	v_add3_u32 v4, v10, v11, v4
	v_sub_co_u32_e32 v5, vcc, v5, v9
	v_subb_co_u32_e32 v4, vcc, v6, v4, vcc
	s_waitcnt lgkmcnt(0)
	v_mul_lo_u32 v4, s0, v4
	v_mul_lo_u32 v6, s1, v5
	v_mad_u64_u32 v[1:2], s[0:1], s0, v5, v[1:2]
	s_addc_u32 s19, s19, 0
	s_add_u32 s6, s6, 8
	v_add3_u32 v2, v6, v2, v4
	v_mov_b32_e32 v4, s10
	v_mov_b32_e32 v5, s11
	s_addc_u32 s7, s7, 0
	v_cmp_ge_u64_e32 vcc, s[18:19], v[4:5]
	s_add_u32 s16, s16, 8
	s_addc_u32 s17, s17, 0
	s_cbranch_vccnz .LBB0_9
; %bb.7:                                ;   in Loop: Header=BB0_2 Depth=1
	v_mov_b32_e32 v5, v7
	v_mov_b32_e32 v6, v8
	s_branch .LBB0_2
.LBB0_8:
	v_mov_b32_e32 v8, v6
	v_mov_b32_e32 v7, v5
.LBB0_9:
	s_lshl_b64 s[0:1], s[10:11], 3
	s_add_u32 s0, s2, s0
	s_addc_u32 s1, s3, s1
	s_load_dwordx2 s[2:3], s[0:1], 0x0
	s_load_dwordx2 s[6:7], s[4:5], 0x20
                                        ; implicit-def: $sgpr4
                                        ; implicit-def: $sgpr5
                                        ; implicit-def: $vgpr9
                                        ; implicit-def: $vgpr6
	s_waitcnt lgkmcnt(0)
	v_mad_u64_u32 v[1:2], s[0:1], s2, v7, v[1:2]
	s_mov_b32 s0, 0x253c826
	v_mul_lo_u32 v3, s2, v8
	v_mul_lo_u32 v4, s3, v7
	v_mul_hi_u32 v5, v0, s0
	v_cmp_gt_u64_e32 vcc, s[6:7], v[7:8]
	v_cmp_le_u64_e64 s[0:1], s[6:7], v[7:8]
	v_add3_u32 v2, v4, v2, v3
	v_mul_u32_u24_e32 v3, 0x6e, v5
	v_sub_u32_e32 v4, v0, v3
                                        ; implicit-def: $vgpr7
                                        ; implicit-def: $vgpr8
	s_and_saveexec_b64 s[2:3], s[0:1]
	s_xor_b64 s[0:1], exec, s[2:3]
; %bb.10:
	v_add_u32_e32 v9, 0x6e, v4
	v_add_u32_e32 v6, 0xdc, v4
	;; [unrolled: 1-line block ×4, first 2 shown]
	s_mov_b32 s5, 0
	s_mov_b32 s4, 0
; %bb.11:
	s_or_saveexec_b64 s[2:3], s[0:1]
	v_lshlrev_b64 v[0:1], 2, v[1:2]
	v_mov_b32_e32 v5, s5
	v_mov_b32_e32 v3, s4
	;; [unrolled: 1-line block ×3, first 2 shown]
                                        ; implicit-def: $vgpr12
                                        ; implicit-def: $vgpr10
                                        ; implicit-def: $vgpr13
                                        ; implicit-def: $vgpr15
                                        ; implicit-def: $vgpr14
                                        ; implicit-def: $vgpr16
                                        ; implicit-def: $vgpr29
                                        ; implicit-def: $vgpr17
                                        ; implicit-def: $vgpr30
                                        ; implicit-def: $vgpr18
                                        ; implicit-def: $vgpr31
                                        ; implicit-def: $vgpr19
                                        ; implicit-def: $vgpr32
                                        ; implicit-def: $vgpr20
                                        ; implicit-def: $vgpr33
                                        ; implicit-def: $vgpr21
                                        ; implicit-def: $vgpr34
                                        ; implicit-def: $vgpr22
                                        ; implicit-def: $vgpr35
                                        ; implicit-def: $vgpr23
                                        ; implicit-def: $vgpr11
                                        ; implicit-def: $vgpr25
	s_xor_b64 exec, exec, s[2:3]
	s_cbranch_execz .LBB0_15
; %bb.12:
	v_mad_u64_u32 v[5:6], s[0:1], s12, v4, 0
	v_add_u32_e32 v10, 0x25d, v4
	v_mad_u64_u32 v[7:8], s[0:1], s12, v10, 0
	v_mov_b32_e32 v2, v6
	v_mad_u64_u32 v[2:3], s[0:1], s13, v4, v[2:3]
	v_mov_b32_e32 v9, s15
	v_add_u32_e32 v16, 0x2cb, v4
	v_mov_b32_e32 v6, v2
	v_add_co_u32_e64 v2, s[0:1], s14, v0
	v_addc_co_u32_e64 v3, s[0:1], v9, v1, s[0:1]
	v_mad_u64_u32 v[8:9], s[0:1], s13, v10, v[8:9]
	v_add_u32_e32 v9, 0x6e, v4
	v_lshlrev_b64 v[5:6], 2, v[5:6]
	v_mad_u64_u32 v[10:11], s[0:1], s12, v9, 0
	v_add_co_u32_e64 v12, s[0:1], v2, v5
	v_addc_co_u32_e64 v13, s[0:1], v3, v6, s[0:1]
	v_mad_u64_u32 v[14:15], s[0:1], s12, v16, 0
	v_lshlrev_b64 v[5:6], 2, v[7:8]
	v_mov_b32_e32 v7, v11
	v_mad_u64_u32 v[7:8], s[0:1], s13, v9, v[7:8]
	v_add_co_u32_e64 v22, s[0:1], v2, v5
	v_mov_b32_e32 v5, v15
	v_addc_co_u32_e64 v23, s[0:1], v3, v6, s[0:1]
	v_mad_u64_u32 v[5:6], s[0:1], s13, v16, v[5:6]
	v_mov_b32_e32 v11, v7
	v_add_u32_e32 v6, 0xdc, v4
	v_lshlrev_b64 v[7:8], 2, v[10:11]
	v_mad_u64_u32 v[10:11], s[0:1], s12, v6, 0
	v_add_co_u32_e64 v24, s[0:1], v2, v7
	v_mov_b32_e32 v15, v5
	v_mov_b32_e32 v5, v11
	v_addc_co_u32_e64 v25, s[0:1], v3, v8, s[0:1]
	v_lshlrev_b64 v[7:8], 2, v[14:15]
	v_mad_u64_u32 v[14:15], s[0:1], s13, v6, v[5:6]
	v_add_u32_e32 v17, 0x339, v4
	v_mad_u64_u32 v[15:16], s[0:1], s12, v17, 0
	v_add_co_u32_e64 v26, s[0:1], v2, v7
	v_mov_b32_e32 v5, v16
	v_addc_co_u32_e64 v27, s[0:1], v3, v8, s[0:1]
	v_mad_u64_u32 v[16:17], s[0:1], s13, v17, v[5:6]
	v_add_u32_e32 v7, 0x14a, v4
	v_mad_u64_u32 v[17:18], s[0:1], s12, v7, 0
	v_mov_b32_e32 v11, v14
	v_lshlrev_b64 v[10:11], 2, v[10:11]
	v_mov_b32_e32 v5, v18
	v_add_co_u32_e64 v28, s[0:1], v2, v10
	v_addc_co_u32_e64 v29, s[0:1], v3, v11, s[0:1]
	v_lshlrev_b64 v[10:11], 2, v[15:16]
	v_mad_u64_u32 v[14:15], s[0:1], s13, v7, v[5:6]
	v_add_u32_e32 v8, 0x3a7, v4
	v_mad_u64_u32 v[15:16], s[0:1], s12, v8, 0
	v_add_co_u32_e64 v30, s[0:1], v2, v10
	v_mov_b32_e32 v18, v14
	v_mov_b32_e32 v5, v16
	v_addc_co_u32_e64 v31, s[0:1], v3, v11, s[0:1]
	v_lshlrev_b64 v[10:11], 2, v[17:18]
	v_mad_u64_u32 v[16:17], s[0:1], s13, v8, v[5:6]
	v_add_co_u32_e64 v32, s[0:1], v2, v10
	v_add_u32_e32 v8, 0x1b8, v4
	v_addc_co_u32_e64 v33, s[0:1], v3, v11, s[0:1]
	v_mad_u64_u32 v[34:35], s[0:1], s12, v8, 0
	v_lshlrev_b64 v[10:11], 2, v[15:16]
	v_add_u32_e32 v40, 0x415, v4
	v_add_co_u32_e64 v36, s[0:1], v2, v10
	v_addc_co_u32_e64 v37, s[0:1], v3, v11, s[0:1]
	v_mov_b32_e32 v5, v35
	v_mad_u64_u32 v[38:39], s[0:1], s12, v40, 0
	v_mad_u64_u32 v[14:15], s[0:1], s13, v8, v[5:6]
	v_mov_b32_e32 v5, v39
	global_load_dword v10, v[12:13], off
	global_load_dword v15, v[22:23], off
	;; [unrolled: 1-line block ×8, first 2 shown]
	v_mov_b32_e32 v35, v14
	v_mad_u64_u32 v[13:14], s[0:1], s13, v40, v[5:6]
	v_lshlrev_b64 v[11:12], 2, v[34:35]
	v_mov_b32_e32 v24, 0
	v_mov_b32_e32 v39, v13
	v_add_co_u32_e64 v11, s[0:1], v2, v11
	v_lshlrev_b64 v[13:14], 2, v[38:39]
	v_addc_co_u32_e64 v12, s[0:1], v3, v12, s[0:1]
	v_add_co_u32_e64 v13, s[0:1], v2, v13
	v_addc_co_u32_e64 v14, s[0:1], v3, v14, s[0:1]
	global_load_dword v22, v[11:12], off
	global_load_dword v23, v[13:14], off
	v_cmp_gt_u32_e64 s[0:1], 55, v4
	v_mov_b32_e32 v5, 0
                                        ; implicit-def: $vgpr25
                                        ; implicit-def: $vgpr11
	s_and_saveexec_b64 s[4:5], s[0:1]
	s_cbranch_execz .LBB0_14
; %bb.13:
	v_add_u32_e32 v24, 0x226, v4
	v_mad_u64_u32 v[11:12], s[0:1], s12, v24, 0
	v_add_u32_e32 v26, 0x483, v4
	v_mad_u64_u32 v[13:14], s[0:1], s12, v26, 0
	v_mov_b32_e32 v5, v12
	v_mad_u64_u32 v[24:25], s[0:1], s13, v24, v[5:6]
	v_mov_b32_e32 v5, v14
	v_mov_b32_e32 v12, v24
	v_mad_u64_u32 v[24:25], s[0:1], s13, v26, v[5:6]
	v_lshlrev_b64 v[11:12], 2, v[11:12]
	v_mov_b32_e32 v14, v24
	v_add_co_u32_e64 v11, s[0:1], v2, v11
	v_lshlrev_b64 v[13:14], 2, v[13:14]
	v_addc_co_u32_e64 v12, s[0:1], v3, v12, s[0:1]
	v_add_co_u32_e64 v2, s[0:1], v2, v13
	v_addc_co_u32_e64 v3, s[0:1], v3, v14, s[0:1]
	global_load_dword v24, v[11:12], off
	global_load_dword v25, v[2:3], off
	s_waitcnt vmcnt(1)
	v_lshrrev_b32_e32 v5, 16, v24
	s_waitcnt vmcnt(0)
	v_lshrrev_b32_e32 v11, 16, v25
.LBB0_14:
	s_or_b64 exec, exec, s[4:5]
	s_waitcnt vmcnt(9)
	v_lshrrev_b32_e32 v12, 16, v10
	s_waitcnt vmcnt(8)
	v_lshrrev_b32_e32 v13, 16, v15
	;; [unrolled: 2-line block ×10, first 2 shown]
	v_mov_b32_e32 v3, v4
.LBB0_15:
	s_or_b64 exec, exec, s[2:3]
	v_sub_f16_e32 v15, v10, v15
	v_fma_f16 v26, v10, 2.0, -v15
	v_sub_f16_e32 v17, v16, v17
	v_fma_f16 v27, v16, 2.0, -v17
	v_sub_f16_e32 v19, v18, v19
	v_lshl_add_u32 v37, v4, 2, 0
	v_pack_b32_f16 v15, v26, v15
	v_fma_f16 v18, v18, 2.0, -v19
	v_sub_f16_e32 v21, v20, v21
	ds_write_b32 v37, v15
	v_lshl_add_u32 v36, v9, 2, 0
	v_pack_b32_f16 v15, v27, v17
	v_fma_f16 v20, v20, 2.0, -v21
	v_sub_f16_e32 v23, v22, v23
	ds_write_b32 v36, v15
	v_lshl_add_u32 v39, v6, 2, 0
	v_pack_b32_f16 v15, v18, v19
	v_fma_f16 v22, v22, 2.0, -v23
	ds_write_b32 v39, v15
	v_lshl_add_u32 v41, v7, 2, 0
	v_pack_b32_f16 v15, v20, v21
	ds_write_b32 v41, v15
	v_lshl_add_u32 v42, v8, 2, 0
	v_pack_b32_f16 v15, v22, v23
	v_sub_f16_e32 v16, v24, v25
	ds_write_b32 v42, v15
	v_add_u32_e32 v15, 0x226, v4
	v_fma_f16 v10, v24, 2.0, -v16
	v_lshlrev_b32_e32 v2, 1, v4
	v_lshlrev_b32_e32 v43, 1, v9
	;; [unrolled: 1-line block ×3, first 2 shown]
	v_cmp_gt_u32_e64 s[2:3], 55, v4
	v_lshl_add_u32 v38, v15, 2, 0
	s_and_saveexec_b64 s[0:1], s[2:3]
	s_cbranch_execz .LBB0_17
; %bb.16:
	s_mov_b32 s4, 0x5040100
	v_perm_b32 v15, v16, v10, s4
	ds_write_b32 v38, v15
.LBB0_17:
	s_or_b64 exec, exec, s[0:1]
	v_sub_u32_e32 v22, v37, v2
	v_sub_u32_e32 v15, v36, v43
	s_waitcnt lgkmcnt(0)
	s_barrier
	ds_read_u16 v17, v22
	ds_read_u16 v20, v22 offset:484
	ds_read_u16 v19, v22 offset:1936
	;; [unrolled: 1-line block ×7, first 2 shown]
	ds_read_u16 v15, v15
	ds_read_u16 v22, v22 offset:2156
	v_sub_u32_e32 v2, 0, v2
	v_cmp_gt_u32_e64 s[0:1], 22, v4
	v_sub_u32_e32 v40, v39, v24
	v_add_u32_e32 v2, v37, v2
                                        ; implicit-def: $vgpr24
                                        ; implicit-def: $vgpr26
                                        ; implicit-def: $vgpr27
	s_and_saveexec_b64 s[4:5], s[0:1]
	s_cbranch_execz .LBB0_19
; %bb.18:
	ds_read_u16 v10, v40
	ds_read_u16 v16, v2 offset:924
	ds_read_u16 v27, v2 offset:1408
	;; [unrolled: 1-line block ×4, first 2 shown]
.LBB0_19:
	s_or_b64 exec, exec, s[4:5]
	v_sub_f16_e32 v13, v12, v13
	v_fma_f16 v12, v12, 2.0, -v13
	v_sub_f16_e32 v29, v14, v29
	v_sub_f16_e32 v44, v30, v31
	;; [unrolled: 1-line block ×3, first 2 shown]
	v_fma_f16 v14, v14, 2.0, -v29
	v_fma_f16 v11, v5, 2.0, -v31
	v_pack_b32_f16 v5, v12, v13
	v_fma_f16 v30, v30, 2.0, -v44
	v_sub_f16_e32 v33, v32, v33
	s_waitcnt lgkmcnt(0)
	s_barrier
	ds_write_b32 v37, v5
	v_pack_b32_f16 v5, v14, v29
	v_fma_f16 v32, v32, 2.0, -v33
	v_sub_f16_e32 v35, v34, v35
	ds_write_b32 v36, v5
	v_pack_b32_f16 v5, v30, v44
	v_fma_f16 v34, v34, 2.0, -v35
	ds_write_b32 v39, v5
	v_pack_b32_f16 v5, v32, v33
	v_sub_u32_e32 v43, 0, v43
	ds_write_b32 v41, v5
	v_pack_b32_f16 v5, v34, v35
	ds_write_b32 v42, v5
	s_and_saveexec_b64 s[4:5], s[2:3]
	s_cbranch_execz .LBB0_21
; %bb.20:
	s_mov_b32 s2, 0x5040100
	v_perm_b32 v5, v31, v11, s2
	ds_write_b32 v38, v5
.LBB0_21:
	s_or_b64 exec, exec, s[4:5]
	s_waitcnt lgkmcnt(0)
	s_barrier
	ds_read_u16 v30, v2 offset:484
	v_add_u32_e32 v5, v36, v43
	ds_read_u16 v29, v2 offset:1672
	ds_read_u16 v32, v2 offset:1452
	;; [unrolled: 1-line block ×5, first 2 shown]
	ds_read_u16 v14, v2
	ds_read_u16 v13, v5
	ds_read_u16 v39, v2 offset:1936
	ds_read_u16 v45, v2 offset:2156
                                        ; implicit-def: $vgpr44
                                        ; implicit-def: $vgpr46
                                        ; implicit-def: $vgpr47
	s_and_saveexec_b64 s[2:3], s[0:1]
	s_cbranch_execz .LBB0_23
; %bb.22:
	ds_read_u16 v11, v40
	ds_read_u16 v31, v2 offset:924
	ds_read_u16 v47, v2 offset:1408
	ds_read_u16 v46, v2 offset:1892
	ds_read_u16 v44, v2 offset:2376
.LBB0_23:
	s_or_b64 exec, exec, s[2:3]
	v_and_b32_e32 v12, 1, v4
	v_lshlrev_b32_e32 v35, 4, v12
	global_load_dwordx4 v[48:51], v35, s[8:9]
	s_mov_b32 s5, 0xbb9c
	s_movk_i32 s7, 0x3b9c
	s_mov_b32 s4, 0xb8b4
	s_movk_i32 s10, 0x38b4
	s_movk_i32 s6, 0x34f2
	v_lshrrev_b32_e32 v9, 1, v9
	v_mul_lo_u32 v9, v9, 10
	s_waitcnt vmcnt(0) lgkmcnt(0)
	s_barrier
	v_or_b32_e32 v9, v9, v12
	v_mul_f16_sdwa v35, v30, v48 dst_sel:DWORD dst_unused:UNUSED_PAD src0_sel:DWORD src1_sel:WORD_1
	v_mul_f16_sdwa v37, v20, v48 dst_sel:DWORD dst_unused:UNUSED_PAD src0_sel:DWORD src1_sel:WORD_1
	;; [unrolled: 1-line block ×15, first 2 shown]
	v_fma_f16 v40, v20, v48, v35
	v_fma_f16 v35, v30, v48, -v37
	v_fma_f16 v41, v28, v49, v38
	v_fma_f16 v37, v36, v49, -v42
	v_fma_f16 v42, v25, v50, v43
	v_fma_f16 v43, v19, v51, v53
	v_mul_f16_sdwa v60, v18, v50 dst_sel:DWORD dst_unused:UNUSED_PAD src0_sel:DWORD src1_sel:WORD_1
	v_mul_f16_sdwa v61, v45, v51 dst_sel:DWORD dst_unused:UNUSED_PAD src0_sel:DWORD src1_sel:WORD_1
	;; [unrolled: 1-line block ×8, first 2 shown]
	v_fma_f16 v38, v32, v50, -v52
	v_fma_f16 v39, v39, v51, -v54
	v_fma_f16 v32, v23, v48, v55
	v_fma_f16 v25, v33, v48, -v56
	v_fma_f16 v33, v21, v49, v57
	;; [unrolled: 2-line block ×3, first 2 shown]
	v_fma_f16 v21, v27, v49, v65
	v_fma_f16 v18, v47, v49, -v66
	v_add_f16_e32 v27, v41, v42
	v_add_f16_e32 v47, v40, v43
	v_mul_f16_sdwa v69, v44, v51 dst_sel:DWORD dst_unused:UNUSED_PAD src0_sel:DWORD src1_sel:WORD_1
	v_fma_f16 v29, v29, v50, -v60
	v_fma_f16 v36, v22, v51, v61
	v_fma_f16 v30, v45, v51, -v62
	v_fma_f16 v22, v16, v48, v63
	v_fma_f16 v16, v31, v48, -v64
	v_fma_f16 v23, v26, v50, v67
	v_fma_f16 v19, v46, v50, -v68
	v_fma_f16 v20, v44, v51, -v70
	v_add_f16_e32 v26, v17, v40
	v_sub_f16_e32 v31, v35, v39
	v_sub_f16_e32 v44, v37, v38
	;; [unrolled: 1-line block ×6, first 2 shown]
	v_add_f16_e32 v50, v15, v32
	v_fma_f16 v27, v27, -0.5, v17
	v_fma_f16 v17, v47, -0.5, v17
	v_add_f16_e32 v45, v45, v46
	v_add_f16_e32 v46, v48, v49
	;; [unrolled: 1-line block ×3, first 2 shown]
	v_fma_f16 v48, v31, s5, v27
	v_fma_f16 v27, v31, s7, v27
	;; [unrolled: 1-line block ×5, first 2 shown]
	v_add_f16_e32 v51, v33, v34
	v_add_f16_e32 v47, v47, v34
	v_fma_f16 v48, v44, s4, v48
	v_fma_f16 v27, v44, s10, v27
	;; [unrolled: 1-line block ×4, first 2 shown]
	v_add_f16_e32 v31, v47, v36
	v_fma_f16 v47, v45, s6, v48
	v_fma_f16 v27, v45, s6, v27
	v_fma_f16 v45, v46, s6, v44
	v_fma_f16 v17, v46, s6, v17
	v_fma_f16 v44, v51, -0.5, v15
	v_sub_f16_e32 v46, v25, v30
	v_fma_f16 v48, v46, s5, v44
	v_sub_f16_e32 v49, v28, v29
	v_sub_f16_e32 v50, v32, v33
	;; [unrolled: 1-line block ×3, first 2 shown]
	v_fma_f16 v44, v46, s7, v44
	v_fma_f16 v48, v49, s4, v48
	v_add_f16_e32 v50, v50, v51
	v_fma_f16 v44, v49, s10, v44
	v_fma_f16 v48, v50, s6, v48
	;; [unrolled: 1-line block ×3, first 2 shown]
	v_add_f16_e32 v44, v32, v36
	v_fma_f16 v15, v44, -0.5, v15
	v_fma_f16 v44, v49, s7, v15
	v_sub_f16_e32 v51, v33, v32
	v_sub_f16_e32 v52, v34, v36
	v_fma_f16 v44, v46, s4, v44
	v_add_f16_e32 v51, v51, v52
	v_fma_f16 v52, v51, s6, v44
	v_lshrrev_b32_e32 v44, 1, v4
	v_add_f16_e32 v26, v26, v41
	v_mul_u32_u24_e32 v44, 10, v44
	v_add_f16_e32 v26, v26, v42
	v_or_b32_e32 v44, v44, v12
	v_add_f16_e32 v26, v26, v43
	v_fma_f16 v15, v49, s5, v15
	v_lshl_add_u32 v44, v44, 1, 0
	v_fma_f16 v15, v46, s10, v15
	ds_write_b16 v44, v26
	ds_write_b16 v44, v47 offset:4
	ds_write_b16 v44, v45 offset:8
	ds_write_b16 v44, v17 offset:12
	ds_write_b16 v44, v27 offset:16
	v_lshl_add_u32 v45, v9, 1, 0
	v_fma_f16 v15, v51, s6, v15
	ds_write_b16 v45, v31
	ds_write_b16 v45, v48 offset:4
	ds_write_b16 v45, v52 offset:8
	;; [unrolled: 1-line block ×4, first 2 shown]
	v_lshrrev_b32_e32 v31, 1, v6
	s_and_saveexec_b64 s[2:3], s[0:1]
	s_cbranch_execz .LBB0_25
; %bb.24:
	v_add_f16_e32 v17, v22, v24
	v_sub_f16_e32 v9, v21, v22
	v_sub_f16_e32 v15, v23, v24
	v_fma_f16 v17, v17, -0.5, v10
	v_sub_f16_e32 v26, v18, v19
	v_add_f16_e32 v9, v9, v15
	v_sub_f16_e32 v15, v16, v20
	v_fma_f16 v27, v26, s5, v17
	v_fma_f16 v17, v26, s7, v17
	;; [unrolled: 1-line block ×6, first 2 shown]
	v_sub_f16_e32 v17, v22, v21
	v_sub_f16_e32 v46, v24, v23
	v_add_f16_e32 v17, v17, v46
	v_add_f16_e32 v46, v21, v23
	v_fma_f16 v46, v46, -0.5, v10
	v_fma_f16 v47, v15, s7, v46
	v_fma_f16 v15, v15, s5, v46
	;; [unrolled: 1-line block ×6, first 2 shown]
	v_mul_lo_u32 v17, v31, 10
	v_add_f16_e32 v10, v10, v22
	v_add_f16_e32 v10, v10, v21
	;; [unrolled: 1-line block ×3, first 2 shown]
	v_or_b32_e32 v17, v17, v12
	v_add_f16_e32 v10, v10, v24
	v_lshl_add_u32 v17, v17, 1, 0
	ds_write_b16 v17, v10
	ds_write_b16 v17, v15 offset:4
	ds_write_b16 v17, v9 offset:8
	;; [unrolled: 1-line block ×4, first 2 shown]
.LBB0_25:
	s_or_b64 exec, exec, s[2:3]
	v_add_f16_e32 v9, v14, v35
	v_add_f16_e32 v9, v9, v37
	;; [unrolled: 1-line block ×5, first 2 shown]
	v_fma_f16 v9, v9, -0.5, v14
	v_sub_f16_e32 v10, v40, v43
	v_fma_f16 v15, v10, s7, v9
	v_sub_f16_e32 v17, v41, v42
	v_sub_f16_e32 v26, v35, v37
	;; [unrolled: 1-line block ×3, first 2 shown]
	v_fma_f16 v9, v10, s5, v9
	v_add_f16_e32 v26, v26, v27
	v_fma_f16 v9, v17, s4, v9
	v_fma_f16 v41, v26, s6, v9
	v_add_f16_e32 v9, v35, v39
	v_fma_f16 v15, v17, s10, v15
	v_fma_f16 v9, v9, -0.5, v14
	v_fma_f16 v40, v26, s6, v15
	v_fma_f16 v14, v17, s5, v9
	v_sub_f16_e32 v15, v37, v35
	v_sub_f16_e32 v26, v38, v39
	v_fma_f16 v9, v17, s7, v9
	v_add_f16_e32 v15, v15, v26
	v_fma_f16 v9, v10, s4, v9
	v_fma_f16 v37, v15, s6, v9
	v_add_f16_e32 v9, v13, v25
	v_add_f16_e32 v9, v9, v28
	;; [unrolled: 1-line block ×5, first 2 shown]
	v_fma_f16 v14, v10, s10, v14
	v_fma_f16 v9, v9, -0.5, v13
	v_sub_f16_e32 v10, v32, v36
	v_fma_f16 v35, v15, s6, v14
	v_fma_f16 v14, v10, s7, v9
	v_sub_f16_e32 v15, v33, v34
	v_sub_f16_e32 v17, v25, v28
	;; [unrolled: 1-line block ×3, first 2 shown]
	v_fma_f16 v9, v10, s5, v9
	v_add_f16_e32 v17, v17, v26
	v_fma_f16 v9, v15, s4, v9
	v_fma_f16 v33, v17, s6, v9
	v_add_f16_e32 v9, v25, v30
	v_fma_f16 v14, v15, s10, v14
	v_fma_f16 v9, v9, -0.5, v13
	v_fma_f16 v32, v17, s6, v14
	v_fma_f16 v13, v15, s5, v9
	v_sub_f16_e32 v14, v28, v25
	v_sub_f16_e32 v17, v29, v30
	v_fma_f16 v9, v15, s7, v9
	v_add_f16_e32 v14, v14, v17
	v_fma_f16 v9, v10, s4, v9
	v_fma_f16 v13, v10, s10, v13
	;; [unrolled: 1-line block ×3, first 2 shown]
	v_lshl_add_u32 v9, v6, 1, 0
	v_fma_f16 v34, v14, s6, v13
	s_waitcnt lgkmcnt(0)
	s_barrier
	v_lshl_add_u32 v10, v7, 1, 0
	v_lshl_add_u32 v7, v8, 1, 0
	ds_read_u16 v28, v9
	ds_read_u16 v27, v10
	;; [unrolled: 1-line block ×3, first 2 shown]
	v_lshl_add_u32 v6, v4, 1, 0
	ds_read_u16 v15, v2 offset:1320
	ds_read_u16 v13, v2 offset:1540
	ds_read_u16 v8, v2
	ds_read_u16 v30, v5
	ds_read_u16 v29, v6 offset:1100
	ds_read_u16 v26, v2 offset:1760
	;; [unrolled: 1-line block ×4, first 2 shown]
	s_waitcnt lgkmcnt(0)
	s_barrier
	ds_write_b16 v44, v46
	ds_write_b16 v44, v40 offset:4
	ds_write_b16 v44, v35 offset:8
	;; [unrolled: 1-line block ×4, first 2 shown]
	ds_write_b16 v45, v38
	ds_write_b16 v45, v32 offset:4
	ds_write_b16 v45, v34 offset:8
	;; [unrolled: 1-line block ×4, first 2 shown]
	s_and_saveexec_b64 s[2:3], s[0:1]
	s_cbranch_execz .LBB0_27
; %bb.26:
	v_add_f16_e32 v33, v18, v19
	v_fma_f16 v33, v33, -0.5, v11
	v_sub_f16_e32 v22, v22, v24
	s_movk_i32 s0, 0x3b9c
	v_fma_f16 v24, v22, s0, v33
	v_sub_f16_e32 v21, v21, v23
	s_movk_i32 s1, 0x38b4
	v_add_f16_e32 v32, v11, v16
	v_fma_f16 v23, v21, s1, v24
	v_sub_f16_e32 v24, v16, v18
	v_sub_f16_e32 v34, v20, v19
	v_fma_f16 v33, v22, s5, v33
	s_mov_b32 s6, 0xb8b4
	v_add_f16_e32 v32, v32, v18
	v_add_f16_e32 v24, v24, v34
	s_movk_i32 s4, 0x34f2
	v_fma_f16 v33, v21, s6, v33
	v_add_f16_e32 v32, v32, v19
	v_fma_f16 v23, v24, s4, v23
	v_fma_f16 v24, v24, s4, v33
	v_add_f16_e32 v33, v16, v20
	v_sub_f16_e32 v16, v18, v16
	v_sub_f16_e32 v18, v19, v20
	v_mul_lo_u32 v19, v31, 10
	v_fma_f16 v11, v33, -0.5, v11
	v_fma_f16 v33, v21, s5, v11
	v_fma_f16 v11, v21, s0, v11
	v_or_b32_e32 v12, v19, v12
	v_add_f16_e32 v32, v32, v20
	v_fma_f16 v33, v22, s1, v33
	v_add_f16_e32 v16, v16, v18
	v_fma_f16 v11, v22, s6, v11
	v_lshl_add_u32 v12, v12, 1, 0
	v_fma_f16 v18, v16, s4, v33
	v_fma_f16 v11, v16, s4, v11
	ds_write_b16 v12, v32
	ds_write_b16 v12, v23 offset:4
	ds_write_b16 v12, v18 offset:8
	;; [unrolled: 1-line block ×4, first 2 shown]
.LBB0_27:
	s_or_b64 exec, exec, s[2:3]
	s_movk_i32 s0, 0xcd
	v_mul_lo_u16_sdwa v11, v4, s0 dst_sel:DWORD dst_unused:UNUSED_PAD src0_sel:BYTE_0 src1_sel:DWORD
	v_lshrrev_b16_e32 v16, 11, v11
	v_mul_lo_u16_e32 v11, 10, v16
	v_sub_u16_e32 v22, v4, v11
	v_mov_b32_e32 v11, 10
	v_mul_u32_u24_sdwa v11, v22, v11 dst_sel:DWORD dst_unused:UNUSED_PAD src0_sel:BYTE_0 src1_sel:DWORD
	v_lshlrev_b32_e32 v23, 2, v11
	s_waitcnt lgkmcnt(0)
	s_barrier
	global_load_dwordx4 v[18:21], v23, s[8:9] offset:32
	global_load_dwordx4 v[31:34], v23, s[8:9] offset:48
	global_load_dwordx2 v[11:12], v23, s[8:9] offset:64
	ds_read_u16 v23, v9
	ds_read_u16 v24, v10
	;; [unrolled: 1-line block ×4, first 2 shown]
	ds_read_u16 v37, v6 offset:1100
	ds_read_u16 v38, v2
	ds_read_u16 v39, v2 offset:1320
	ds_read_u16 v40, v2 offset:1540
	;; [unrolled: 1-line block ×5, first 2 shown]
	s_movk_i32 s0, 0x3abb
	s_mov_b32 s5, 0xb853
	s_movk_i32 s6, 0x3853
	s_movk_i32 s1, 0x36a6
	s_mov_b32 s2, 0xb08e
	s_mov_b32 s3, 0xb93d
	;; [unrolled: 1-line block ×4, first 2 shown]
	s_movk_i32 s11, 0x3b47
	s_mov_b32 s7, 0xbbeb
	s_movk_i32 s16, 0x3beb
	s_mov_b32 s17, 0xba0c
	;; [unrolled: 2-line block ×3, first 2 shown]
	s_movk_i32 s20, 0x3482
	s_waitcnt vmcnt(0) lgkmcnt(0)
	s_barrier
	v_mul_f16_sdwa v44, v36, v18 dst_sel:DWORD dst_unused:UNUSED_PAD src0_sel:DWORD src1_sel:WORD_1
	v_mul_f16_sdwa v45, v30, v18 dst_sel:DWORD dst_unused:UNUSED_PAD src0_sel:DWORD src1_sel:WORD_1
	;; [unrolled: 1-line block ×15, first 2 shown]
	v_fma_f16 v30, v30, v18, v44
	v_fma_f16 v18, v36, v18, -v45
	v_mul_f16_sdwa v51, v25, v21 dst_sel:DWORD dst_unused:UNUSED_PAD src0_sel:DWORD src1_sel:WORD_1
	v_fma_f16 v28, v28, v19, v46
	v_fma_f16 v19, v23, v19, -v47
	v_fma_f16 v23, v27, v20, v48
	v_fma_f16 v20, v24, v20, -v49
	v_fma_f16 v24, v25, v21, v50
	v_fma_f16 v25, v29, v31, v52
	v_fma_f16 v27, v37, v31, -v53
	v_fma_f16 v15, v15, v32, v54
	v_fma_f16 v29, v39, v32, -v55
	;; [unrolled: 2-line block ×4, first 2 shown]
	v_add_f16_e32 v33, v8, v30
	v_add_f16_e32 v34, v38, v18
	;; [unrolled: 1-line block ×4, first 2 shown]
	v_fma_f16 v21, v35, v21, -v51
	v_add_f16_e32 v33, v33, v23
	v_add_f16_e32 v34, v34, v20
	;; [unrolled: 1-line block ×4, first 2 shown]
	v_mul_f16_sdwa v62, v43, v12 dst_sel:DWORD dst_unused:UNUSED_PAD src0_sel:DWORD src1_sel:WORD_1
	v_mul_f16_sdwa v63, v14, v12 dst_sel:DWORD dst_unused:UNUSED_PAD src0_sel:DWORD src1_sel:WORD_1
	v_add_f16_e32 v33, v33, v25
	v_add_f16_e32 v34, v34, v27
	v_fma_f16 v14, v14, v12, v62
	v_fma_f16 v12, v43, v12, -v63
	v_add_f16_e32 v33, v33, v15
	v_add_f16_e32 v34, v34, v29
	v_mul_f16_sdwa v60, v42, v11 dst_sel:DWORD dst_unused:UNUSED_PAD src0_sel:DWORD src1_sel:WORD_1
	v_mul_f16_sdwa v61, v17, v11 dst_sel:DWORD dst_unused:UNUSED_PAD src0_sel:DWORD src1_sel:WORD_1
	v_add_f16_e32 v36, v18, v12
	v_sub_f16_e32 v18, v18, v12
	v_add_f16_e32 v33, v33, v13
	v_add_f16_e32 v34, v34, v31
	v_fma_f16 v17, v17, v11, v60
	v_fma_f16 v11, v42, v11, -v61
	v_add_f16_e32 v35, v30, v14
	v_mul_f16_e32 v37, 0xb853, v18
	v_add_f16_e32 v33, v33, v26
	v_add_f16_e32 v34, v34, v32
	v_fma_f16 v40, v35, s0, v37
	v_fma_f16 v37, v35, s0, -v37
	v_add_f16_e32 v33, v33, v17
	v_add_f16_e32 v34, v34, v11
	v_sub_f16_e32 v30, v30, v14
	v_mul_f16_e32 v39, 0x3abb, v36
	v_add_f16_e32 v14, v33, v14
	v_add_f16_e32 v33, v34, v12
	;; [unrolled: 1-line block ×3, first 2 shown]
	v_mul_f16_e32 v37, 0xbb47, v18
	v_mul_f16_e32 v44, 0xbbeb, v18
	;; [unrolled: 1-line block ×4, first 2 shown]
	v_fma_f16 v41, v30, s6, v39
	v_fma_f16 v34, v30, s5, v39
	v_fma_f16 v39, v35, s1, v37
	v_mul_f16_e32 v42, 0x36a6, v36
	v_fma_f16 v37, v35, s1, -v37
	v_fma_f16 v45, v35, s2, v44
	v_mul_f16_e32 v46, 0xb08e, v36
	v_fma_f16 v44, v35, s2, -v44
	v_fma_f16 v49, v35, s3, v48
	;; [unrolled: 3-line block ×3, first 2 shown]
	v_mul_f16_e32 v36, 0xbbad, v36
	v_fma_f16 v18, v35, s4, -v18
	v_add_f16_e32 v35, v19, v11
	v_sub_f16_e32 v11, v19, v11
	v_add_f16_e32 v40, v8, v40
	v_add_f16_e32 v39, v8, v39
	v_fma_f16 v43, v30, s11, v42
	v_add_f16_e32 v37, v8, v37
	v_fma_f16 v42, v30, s10, v42
	v_add_f16_e32 v45, v8, v45
	v_fma_f16 v47, v30, s16, v46
	v_add_f16_e32 v44, v8, v44
	v_fma_f16 v46, v30, s7, v46
	v_add_f16_e32 v49, v8, v49
	v_fma_f16 v51, v30, s18, v50
	v_add_f16_e32 v48, v8, v48
	v_fma_f16 v50, v30, s17, v50
	v_add_f16_e32 v52, v8, v52
	v_fma_f16 v53, v30, s20, v36
	v_add_f16_e32 v8, v8, v18
	v_fma_f16 v18, v30, s19, v36
	v_add_f16_e32 v30, v28, v17
	v_mul_f16_e32 v19, 0xbb47, v11
	v_sub_f16_e32 v17, v28, v17
	v_fma_f16 v28, v30, s1, v19
	v_mul_f16_e32 v36, 0x36a6, v35
	v_fma_f16 v19, v30, s1, -v19
	v_add_f16_e32 v34, v38, v34
	v_add_f16_e32 v12, v19, v12
	v_fma_f16 v19, v17, s10, v36
	v_add_f16_e32 v19, v19, v34
	v_mul_f16_e32 v34, 0xba0c, v11
	v_add_f16_e32 v41, v38, v41
	v_add_f16_e32 v43, v38, v43
	;; [unrolled: 1-line block ×9, first 2 shown]
	v_fma_f16 v38, v17, s11, v36
	v_fma_f16 v36, v30, s3, v34
	v_add_f16_e32 v36, v36, v39
	v_mul_f16_e32 v39, 0xb93d, v35
	v_fma_f16 v34, v30, s3, -v34
	v_add_f16_e32 v28, v28, v40
	v_fma_f16 v40, v17, s18, v39
	v_add_f16_e32 v34, v34, v37
	v_fma_f16 v37, v17, s17, v39
	v_mul_f16_e32 v39, 0x3482, v11
	v_add_f16_e32 v38, v38, v41
	v_fma_f16 v41, v30, s4, v39
	v_fma_f16 v39, v30, s4, -v39
	v_add_f16_e32 v37, v37, v42
	v_mul_f16_e32 v42, 0xbbad, v35
	v_add_f16_e32 v39, v39, v44
	v_mul_f16_e32 v44, 0x3beb, v11
	v_add_f16_e32 v40, v40, v43
	v_add_f16_e32 v41, v41, v45
	v_fma_f16 v43, v17, s19, v42
	v_fma_f16 v42, v17, s20, v42
	;; [unrolled: 1-line block ×3, first 2 shown]
	v_fma_f16 v44, v30, s2, -v44
	v_mul_f16_e32 v11, 0x3853, v11
	v_add_f16_e32 v42, v42, v46
	v_mul_f16_e32 v46, 0xb08e, v35
	v_add_f16_e32 v44, v44, v48
	v_fma_f16 v48, v30, s0, v11
	v_mul_f16_e32 v35, 0x3abb, v35
	v_fma_f16 v11, v30, s0, -v11
	v_add_f16_e32 v8, v11, v8
	v_fma_f16 v11, v17, s6, v35
	v_add_f16_e32 v11, v11, v18
	v_add_f16_e32 v18, v20, v32
	v_sub_f16_e32 v20, v20, v32
	v_add_f16_e32 v43, v43, v47
	v_add_f16_e32 v45, v45, v49
	v_fma_f16 v47, v17, s7, v46
	v_fma_f16 v46, v17, s16, v46
	;; [unrolled: 1-line block ×3, first 2 shown]
	v_add_f16_e32 v17, v23, v26
	v_sub_f16_e32 v23, v23, v26
	v_mul_f16_e32 v26, 0xbbeb, v20
	v_fma_f16 v30, v17, s2, v26
	v_add_f16_e32 v28, v30, v28
	v_mul_f16_e32 v30, 0xb08e, v18
	v_fma_f16 v26, v17, s2, -v26
	v_add_f16_e32 v12, v26, v12
	v_fma_f16 v26, v23, s7, v30
	v_add_f16_e32 v19, v26, v19
	v_mul_f16_e32 v26, 0x3482, v20
	v_fma_f16 v32, v23, s16, v30
	v_fma_f16 v30, v17, s4, v26
	v_mul_f16_e32 v35, 0xbbad, v18
	v_fma_f16 v26, v17, s4, -v26
	v_add_f16_e32 v30, v30, v36
	v_fma_f16 v36, v23, s19, v35
	v_add_f16_e32 v26, v26, v34
	v_fma_f16 v34, v23, s20, v35
	v_mul_f16_e32 v35, 0x3b47, v20
	v_add_f16_e32 v34, v34, v37
	v_fma_f16 v37, v17, s1, v35
	v_fma_f16 v35, v17, s1, -v35
	v_add_f16_e32 v32, v32, v38
	v_mul_f16_e32 v38, 0x36a6, v18
	v_add_f16_e32 v35, v35, v39
	v_mul_f16_e32 v39, 0xb853, v20
	v_add_f16_e32 v36, v36, v40
	v_add_f16_e32 v37, v37, v41
	v_fma_f16 v40, v23, s10, v38
	v_fma_f16 v38, v23, s11, v38
	;; [unrolled: 1-line block ×3, first 2 shown]
	v_fma_f16 v39, v17, s0, -v39
	v_mul_f16_e32 v20, 0xba0c, v20
	v_add_f16_e32 v38, v38, v42
	v_mul_f16_e32 v42, 0x3abb, v18
	v_add_f16_e32 v39, v39, v44
	v_fma_f16 v44, v17, s3, v20
	v_mul_f16_e32 v18, 0xb93d, v18
	v_fma_f16 v17, v17, s3, -v20
	v_add_f16_e32 v8, v17, v8
	v_fma_f16 v17, v23, s17, v18
	v_sub_f16_e32 v20, v21, v31
	v_add_f16_e32 v41, v41, v45
	v_fma_f16 v45, v23, s18, v18
	v_add_f16_e32 v11, v17, v11
	v_add_f16_e32 v17, v24, v13
	;; [unrolled: 1-line block ×3, first 2 shown]
	v_mul_f16_e32 v21, 0xba0c, v20
	v_add_f16_e32 v40, v40, v43
	v_fma_f16 v43, v23, s6, v42
	v_fma_f16 v42, v23, s5, v42
	v_sub_f16_e32 v13, v24, v13
	v_fma_f16 v23, v17, s3, v21
	v_mul_f16_e32 v24, 0xb93d, v18
	v_fma_f16 v21, v17, s3, -v21
	v_add_f16_e32 v12, v21, v12
	v_fma_f16 v21, v13, s17, v24
	v_add_f16_e32 v19, v21, v19
	v_mul_f16_e32 v21, 0x3beb, v20
	v_add_f16_e32 v23, v23, v28
	v_fma_f16 v28, v13, s18, v24
	v_fma_f16 v24, v17, s2, v21
	v_add_f16_e32 v24, v24, v30
	v_mul_f16_e32 v30, 0xb08e, v18
	v_fma_f16 v21, v17, s2, -v21
	v_fma_f16 v31, v13, s7, v30
	v_add_f16_e32 v21, v21, v26
	v_fma_f16 v26, v13, s16, v30
	v_mul_f16_e32 v30, 0xb853, v20
	v_add_f16_e32 v28, v28, v32
	v_add_f16_e32 v26, v26, v34
	v_fma_f16 v32, v17, s0, v30
	v_mul_f16_e32 v34, 0x3abb, v18
	v_fma_f16 v30, v17, s0, -v30
	v_add_f16_e32 v31, v31, v36
	v_fma_f16 v36, v13, s6, v34
	v_add_f16_e32 v30, v30, v35
	v_fma_f16 v34, v13, s5, v34
	v_mul_f16_e32 v35, 0xb482, v20
	v_add_f16_e32 v32, v32, v37
	v_add_f16_e32 v34, v34, v38
	v_fma_f16 v37, v17, s4, v35
	v_mul_f16_e32 v38, 0xbbad, v18
	v_mul_f16_e32 v18, 0x36a6, v18
	v_add_f16_e32 v36, v36, v40
	v_add_f16_e32 v37, v37, v41
	v_fma_f16 v40, v13, s20, v38
	v_fma_f16 v35, v17, s4, -v35
	v_fma_f16 v38, v13, s19, v38
	v_mul_f16_e32 v20, 0x3b47, v20
	v_fma_f16 v41, v13, s10, v18
	v_fma_f16 v13, v13, s11, v18
	v_sub_f16_e32 v18, v27, v29
	v_add_f16_e32 v35, v35, v39
	v_fma_f16 v39, v17, s1, v20
	v_fma_f16 v17, v17, s1, -v20
	v_add_f16_e32 v11, v13, v11
	v_add_f16_e32 v13, v25, v15
	v_mul_f16_e32 v20, 0xb482, v18
	v_add_f16_e32 v8, v17, v8
	v_add_f16_e32 v17, v27, v29
	v_sub_f16_e32 v15, v25, v15
	v_fma_f16 v25, v13, s4, v20
	v_add_f16_e32 v23, v25, v23
	v_mul_f16_e32 v25, 0xbbad, v17
	v_fma_f16 v20, v13, s4, -v20
	v_add_f16_e32 v12, v20, v12
	v_fma_f16 v20, v15, s19, v25
	v_fma_f16 v27, v15, s20, v25
	v_add_f16_e32 v25, v20, v19
	v_mul_f16_e32 v19, 0x3853, v18
	v_fma_f16 v20, v13, s0, v19
	v_add_f16_e32 v20, v20, v24
	v_mul_f16_e32 v24, 0x3abb, v17
	v_fma_f16 v19, v13, s0, -v19
	v_add_f16_e32 v27, v27, v28
	v_fma_f16 v28, v15, s5, v24
	v_add_f16_e32 v19, v19, v21
	v_fma_f16 v21, v15, s6, v24
	v_mul_f16_e32 v24, 0xba0c, v18
	v_add_f16_e32 v21, v21, v26
	v_fma_f16 v26, v13, s3, v24
	v_fma_f16 v24, v13, s3, -v24
	v_mul_f16_e32 v29, 0xb93d, v17
	v_add_f16_e32 v24, v24, v30
	v_mul_f16_e32 v30, 0x3b47, v18
	v_add_f16_e32 v46, v46, v50
	v_add_f16_e32 v28, v28, v31
	;; [unrolled: 1-line block ×3, first 2 shown]
	v_fma_f16 v31, v15, s18, v29
	v_fma_f16 v29, v15, s17, v29
	;; [unrolled: 1-line block ×3, first 2 shown]
	v_fma_f16 v30, v13, s1, -v30
	v_mul_f16_e32 v18, 0xbbeb, v18
	v_add_f16_e32 v42, v42, v46
	v_add_f16_e32 v29, v29, v34
	v_mul_f16_e32 v34, 0x36a6, v17
	v_add_f16_e32 v30, v30, v35
	v_fma_f16 v35, v13, s2, v18
	v_mul_f16_e32 v17, 0xb08e, v17
	v_fma_f16 v13, v13, s2, -v18
	v_add_f16_e32 v38, v38, v42
	v_add_f16_e32 v31, v31, v36
	v_fma_f16 v36, v15, s10, v34
	v_fma_f16 v34, v15, s11, v34
	v_add_f16_e32 v8, v13, v8
	v_fma_f16 v13, v15, s7, v17
	v_add_f16_e32 v48, v48, v52
	v_add_f16_e32 v34, v34, v38
	;; [unrolled: 1-line block ×3, first 2 shown]
	v_mov_b32_e32 v13, 1
	v_add_f16_e32 v44, v44, v48
	v_mul_u32_u24_e32 v11, 0xdc, v16
	v_lshlrev_b32_sdwa v13, v13, v22 dst_sel:DWORD dst_unused:UNUSED_PAD src0_sel:DWORD src1_sel:BYTE_0
	v_add_f16_e32 v39, v39, v44
	v_add3_u32 v22, 0, v11, v13
	v_add_f16_e32 v32, v32, v37
	v_add_f16_e32 v35, v35, v39
	v_fma_f16 v37, v15, s16, v17
	ds_write_b16 v22, v14
	ds_write_b16 v22, v23 offset:20
	ds_write_b16 v22, v20 offset:40
	;; [unrolled: 1-line block ×10, first 2 shown]
	s_waitcnt lgkmcnt(0)
	s_barrier
	ds_read_u16 v16, v9
	ds_read_u16 v14, v10
	ds_read_u16 v12, v7
	ds_read_u16 v15, v2 offset:1540
	ds_read_u16 v11, v2 offset:1320
	ds_read_u16 v8, v2
	ds_read_u16 v18, v5
	ds_read_u16 v13, v6 offset:1100
	ds_read_u16 v17, v2 offset:1760
	;; [unrolled: 1-line block ×4, first 2 shown]
	v_add_f16_e32 v47, v47, v51
	v_add_f16_e32 v49, v49, v53
	;; [unrolled: 1-line block ×8, first 2 shown]
	s_waitcnt lgkmcnt(0)
	s_barrier
	ds_write_b16 v22, v33
	ds_write_b16 v22, v27 offset:20
	ds_write_b16 v22, v28 offset:40
	;; [unrolled: 1-line block ×10, first 2 shown]
	s_waitcnt lgkmcnt(0)
	s_barrier
	s_and_saveexec_b64 s[6:7], vcc
	s_cbranch_execz .LBB0_29
; %bb.28:
	v_mul_u32_u24_e32 v4, 10, v4
	v_lshlrev_b32_e32 v4, 2, v4
	global_load_dwordx4 v[21:24], v4, s[8:9] offset:432
	global_load_dwordx2 v[29:30], v4, s[8:9] offset:464
	global_load_dwordx4 v[25:28], v4, s[8:9] offset:448
	ds_read_u16 v4, v2
	ds_read_u16 v9, v9
	;; [unrolled: 1-line block ×5, first 2 shown]
	ds_read_u16 v6, v6 offset:1100
	ds_read_u16 v31, v2 offset:2200
	;; [unrolled: 1-line block ×6, first 2 shown]
	s_waitcnt vmcnt(2)
	v_lshrrev_b32_e32 v35, 16, v21
	v_mul_f16_e32 v39, v18, v21
	s_waitcnt vmcnt(1)
	v_lshrrev_b32_e32 v41, 16, v30
	v_mul_f16_e32 v42, v20, v30
	v_lshrrev_b32_e32 v36, 16, v22
	v_lshrrev_b32_e32 v37, 16, v23
	;; [unrolled: 1-line block ×3, first 2 shown]
	v_mul_f16_e32 v43, v16, v22
	v_mul_f16_e32 v44, v19, v29
	v_mul_f16_e32 v45, v14, v23
	s_waitcnt vmcnt(0)
	v_lshrrev_b32_e32 v46, 16, v25
	s_waitcnt lgkmcnt(6)
	v_fma_f16 v39, v5, v35, v39
	s_waitcnt lgkmcnt(4)
	v_fma_f16 v42, v31, v41, v42
	v_mul_f16_e32 v20, v20, v41
	v_mul_f16_e32 v18, v18, v35
	v_lshrrev_b32_e32 v38, 16, v24
	v_lshrrev_b32_e32 v49, 16, v28
	v_mul_f16_e32 v50, v17, v28
	v_mul_f16_e32 v51, v12, v24
	v_mul_f16_e32 v53, v13, v25
	v_fma_f16 v35, v9, v36, v43
	s_waitcnt lgkmcnt(3)
	v_fma_f16 v41, v32, v40, v44
	v_mul_f16_e32 v19, v19, v40
	v_mul_f16_e32 v16, v16, v36
	v_fma_f16 v36, v10, v37, v45
	v_mul_f16_e32 v13, v13, v46
	v_sub_f16_e32 v45, v39, v42
	v_fma_f16 v20, v31, v30, -v20
	v_fma_f16 v5, v5, v21, -v18
	v_lshrrev_b32_e32 v48, 16, v27
	v_mul_f16_e32 v52, v15, v27
	s_waitcnt lgkmcnt(2)
	v_fma_f16 v40, v33, v49, v50
	v_mul_f16_e32 v17, v17, v49
	v_mul_f16_e32 v14, v14, v37
	v_fma_f16 v37, v7, v38, v51
	v_mul_f16_e32 v12, v12, v38
	v_fma_f16 v38, v6, v46, v53
	v_sub_f16_e32 v18, v35, v41
	v_fma_f16 v19, v32, v29, -v19
	v_fma_f16 v9, v9, v22, -v16
	v_fma_f16 v6, v6, v25, -v13
	v_mul_f16_e32 v13, 0xb853, v45
	v_add_f16_e32 v21, v5, v20
	v_lshrrev_b32_e32 v47, 16, v26
	v_mul_f16_e32 v54, v11, v26
	s_waitcnt lgkmcnt(1)
	v_fma_f16 v43, v34, v48, v52
	v_mul_f16_e32 v15, v15, v48
	v_sub_f16_e32 v16, v36, v40
	v_fma_f16 v17, v33, v28, -v17
	v_fma_f16 v10, v10, v23, -v14
	v_mul_f16_e32 v22, 0xbb47, v18
	v_add_f16_e32 v23, v9, v19
	v_fma_f16 v30, v21, s0, v13
	s_waitcnt lgkmcnt(0)
	v_fma_f16 v44, v2, v47, v54
	v_mul_f16_e32 v11, v11, v47
	v_sub_f16_e32 v14, v37, v43
	v_fma_f16 v15, v34, v27, -v15
	v_fma_f16 v7, v7, v24, -v12
	v_mul_f16_e32 v24, 0xbbeb, v16
	v_add_f16_e32 v25, v10, v17
	v_fma_f16 v31, v23, s1, v22
	v_add_f16_e32 v30, v4, v30
	v_sub_f16_e32 v12, v38, v44
	v_fma_f16 v2, v2, v26, -v11
	v_mul_f16_e32 v26, 0xba0c, v14
	v_add_f16_e32 v27, v7, v15
	v_fma_f16 v32, v25, s2, v24
	v_add_f16_e32 v30, v30, v31
	v_mul_f16_e32 v28, 0xb482, v12
	v_add_f16_e32 v29, v6, v2
	v_fma_f16 v33, v27, s3, v26
	v_add_f16_e32 v30, v30, v32
	v_sub_f16_e32 v31, v5, v20
	v_add_f16_e32 v11, v39, v42
	v_fma_f16 v34, v29, s4, v28
	v_add_f16_e32 v30, v30, v33
	v_mul_f16_e32 v32, 0xb853, v31
	v_sub_f16_e32 v46, v9, v19
	v_add_f16_e32 v30, v30, v34
	v_fma_f16 v33, v11, s0, -v32
	v_add_f16_e32 v34, v35, v41
	v_mul_f16_e32 v47, 0xbb47, v46
	v_add_f16_e32 v33, v8, v33
	v_fma_f16 v48, v34, s1, -v47
	v_sub_f16_e32 v49, v10, v17
	v_add_f16_e32 v33, v33, v48
	v_add_f16_e32 v48, v36, v40
	v_mul_f16_e32 v50, 0xbbeb, v49
	v_fma_f16 v51, v48, s2, -v50
	v_sub_f16_e32 v52, v7, v15
	v_add_f16_e32 v33, v33, v51
	v_add_f16_e32 v51, v37, v43
	v_mul_f16_e32 v53, 0xba0c, v52
	;; [unrolled: 5-line block ×3, first 2 shown]
	v_fma_f16 v57, v54, s4, -v56
	v_add_f16_e32 v33, v33, v57
	v_mul_f16_e32 v57, 0xbb47, v45
	v_fma_f16 v58, v21, s1, v57
	v_mul_f16_e32 v59, 0xba0c, v18
	v_add_f16_e32 v58, v4, v58
	v_fma_f16 v60, v23, s3, v59
	v_add_f16_e32 v58, v58, v60
	v_mul_f16_e32 v60, 0x3482, v16
	v_fma_f16 v61, v25, s4, v60
	v_add_f16_e32 v58, v58, v61
	v_mul_f16_e32 v61, 0x3beb, v14
	v_fma_f16 v62, v27, s2, v61
	v_add_f16_e32 v58, v58, v62
	v_mul_f16_e32 v62, 0x3853, v12
	v_fma_f16 v63, v29, s0, v62
	v_add_f16_e32 v58, v58, v63
	v_mul_f16_e32 v63, 0xbb47, v31
	v_fma_f16 v64, v11, s1, -v63
	v_mul_f16_e32 v65, 0xba0c, v46
	v_add_f16_e32 v64, v8, v64
	v_fma_f16 v66, v34, s3, -v65
	v_add_f16_e32 v64, v64, v66
	v_mul_f16_e32 v66, 0x3482, v49
	v_fma_f16 v67, v48, s4, -v66
	v_add_f16_e32 v64, v64, v67
	v_mul_f16_e32 v67, 0x3beb, v52
	v_fma_f16 v68, v51, s2, -v67
	v_add_f16_e32 v64, v64, v68
	v_mul_f16_e32 v68, 0x3853, v55
	v_fma_f16 v69, v54, s0, -v68
	v_add_f16_e32 v64, v64, v69
	v_mul_f16_e32 v69, 0xbbeb, v45
	v_fma_f16 v70, v21, s2, v69
	v_mul_f16_e32 v71, 0x3482, v18
	v_add_f16_e32 v70, v4, v70
	v_fma_f16 v72, v23, s4, v71
	v_add_f16_e32 v70, v70, v72
	v_mul_f16_e32 v72, 0x3b47, v16
	v_fma_f16 v73, v25, s1, v72
	v_add_f16_e32 v70, v70, v73
	v_mul_f16_e32 v73, 0xb853, v14
	v_fma_f16 v74, v27, s0, v73
	v_add_f16_e32 v70, v70, v74
	v_mul_f16_e32 v74, 0xba0c, v12
	v_fma_f16 v75, v29, s3, v74
	v_add_f16_e32 v70, v70, v75
	v_mul_f16_e32 v75, 0xbbeb, v31
	v_fma_f16 v76, v11, s2, -v75
	v_mul_f16_e32 v77, 0x3482, v46
	v_add_f16_e32 v76, v8, v76
	v_fma_f16 v78, v34, s4, -v77
	v_add_f16_e32 v76, v76, v78
	v_mul_f16_e32 v78, 0x3b47, v49
	v_fma_f16 v79, v48, s1, -v78
	v_add_f16_e32 v76, v76, v79
	v_mul_f16_e32 v79, 0xb853, v52
	v_fma_f16 v80, v51, s0, -v79
	v_add_f16_e32 v76, v76, v80
	v_mul_f16_e32 v80, 0xba0c, v55
	;; [unrolled: 30-line block ×3, first 2 shown]
	v_fma_f16 v93, v54, s1, -v92
	v_mul_f16_e32 v45, 0xb482, v45
	v_add_f16_e32 v88, v88, v93
	v_fma_f16 v93, v21, s4, v45
	v_mul_f16_e32 v18, 0x3853, v18
	v_fma_f16 v45, v21, s4, -v45
	v_add_f16_e32 v93, v4, v93
	v_fma_f16 v94, v23, s0, v18
	v_mul_f16_e32 v16, 0xba0c, v16
	v_add_f16_e32 v45, v4, v45
	v_fma_f16 v18, v23, s0, -v18
	v_add_f16_e32 v93, v93, v94
	v_fma_f16 v94, v25, s3, v16
	v_mul_f16_e32 v14, 0x3b47, v14
	v_add_f16_e32 v18, v45, v18
	;; [unrolled: 5-line block ×4, first 2 shown]
	v_fma_f16 v12, v29, s2, -v12
	v_mul_f16_e32 v46, 0x3853, v46
	v_add_f16_e32 v12, v14, v12
	v_fma_f16 v14, v11, s4, v31
	v_mul_f16_e32 v49, 0xba0c, v49
	v_add_f16_e32 v14, v8, v14
	v_fma_f16 v16, v34, s0, v46
	;; [unrolled: 3-line block ×4, first 2 shown]
	v_add_f16_e32 v14, v14, v16
	v_fma_f16 v16, v54, s2, v55
	v_add_f16_e32 v14, v14, v16
	v_fma_f16 v16, v21, s3, -v81
	v_add_f16_e32 v16, v4, v16
	v_fma_f16 v18, v23, s2, -v83
	;; [unrolled: 2-line block ×5, first 2 shown]
	v_add_f16_e32 v16, v16, v18
	v_fma_f16 v18, v11, s3, v87
	v_add_f16_e32 v93, v93, v94
	v_fma_f16 v94, v11, s4, -v31
	v_add_f16_e32 v18, v8, v18
	v_fma_f16 v31, v34, s2, v89
	v_add_f16_e32 v18, v18, v31
	v_fma_f16 v31, v48, s0, v90
	;; [unrolled: 2-line block ×4, first 2 shown]
	v_add_f16_e32 v18, v18, v31
	v_fma_f16 v31, v21, s2, -v69
	v_add_f16_e32 v31, v4, v31
	v_fma_f16 v45, v23, s4, -v71
	;; [unrolled: 2-line block ×5, first 2 shown]
	v_add_f16_e32 v31, v31, v45
	v_fma_f16 v45, v11, s2, v75
	v_fma_f16 v95, v34, s0, -v46
	v_add_f16_e32 v45, v8, v45
	v_fma_f16 v46, v34, s4, v77
	v_add_f16_e32 v45, v45, v46
	v_fma_f16 v46, v48, s1, v78
	;; [unrolled: 2-line block ×4, first 2 shown]
	v_add_f16_e32 v94, v8, v94
	v_add_f16_e32 v45, v45, v46
	v_fma_f16 v46, v21, s1, -v57
	v_add_f16_e32 v94, v94, v95
	v_fma_f16 v95, v48, s3, -v49
	;; [unrolled: 2-line block ×6, first 2 shown]
	v_fma_f16 v13, v21, s0, -v13
	v_add_f16_e32 v46, v46, v49
	v_fma_f16 v49, v11, s1, v63
	v_fma_f16 v21, v23, s1, -v22
	v_add_f16_e32 v13, v4, v13
	v_add_f16_e32 v94, v94, v95
	v_fma_f16 v95, v51, s1, -v52
	v_add_f16_e32 v49, v8, v49
	v_fma_f16 v52, v34, s3, v65
	v_add_f16_e32 v13, v13, v21
	v_fma_f16 v21, v25, s2, -v24
	v_add_f16_e32 v4, v5, v4
	v_add_f16_e32 v49, v49, v52
	v_fma_f16 v52, v48, s4, v66
	v_add_f16_e32 v13, v13, v21
	v_fma_f16 v21, v27, s3, -v26
	v_add_f16_e32 v4, v4, v9
	;; [unrolled: 5-line block ×3, first 2 shown]
	v_add_f16_e32 v49, v49, v52
	v_fma_f16 v52, v54, s0, v68
	v_add_f16_e32 v13, v13, v21
	v_fma_f16 v11, v11, s0, v32
	v_fma_f16 v21, v34, s1, v47
	v_add_f16_e32 v7, v4, v7
	v_mad_u64_u32 v[4:5], s[0:1], s12, v3, 0
	v_add_f16_e32 v6, v7, v6
	v_add_f16_e32 v11, v8, v11
	;; [unrolled: 1-line block ×6, first 2 shown]
	v_mov_b32_e32 v2, v5
	v_add_f16_e32 v8, v8, v36
	v_mad_u64_u32 v[5:6], s[0:1], s13, v3, v[2:3]
	v_add_f16_e32 v8, v8, v37
	v_add_f16_e32 v8, v8, v38
	v_mov_b32_e32 v6, s15
	v_add_co_u32_e32 v9, vcc, s14, v0
	v_add_f16_e32 v8, v8, v44
	v_addc_co_u32_e32 v10, vcc, v6, v1, vcc
	v_add_u32_e32 v6, 0x6e, v3
	v_add_f16_e32 v8, v43, v8
	v_lshlrev_b64 v[0:1], 2, v[4:5]
	v_mad_u64_u32 v[4:5], s[0:1], s12, v6, 0
	v_add_f16_e32 v8, v40, v8
	v_add_f16_e32 v2, v17, v7
	v_add_f16_e32 v8, v41, v8
	v_add_f16_e32 v2, v19, v2
	v_add_f16_e32 v8, v42, v8
	v_add_f16_e32 v2, v20, v2
	v_pack_b32_f16 v8, v8, v2
	v_mov_b32_e32 v2, v5
	v_mad_u64_u32 v[5:6], s[0:1], s13, v6, v[2:3]
	v_add_u32_e32 v15, 0xdc, v3
	v_mad_u64_u32 v[6:7], s[0:1], s12, v15, 0
	v_add_co_u32_e32 v0, vcc, v9, v0
	v_addc_co_u32_e32 v1, vcc, v10, v1, vcc
	v_mov_b32_e32 v2, v7
	v_add_f16_e32 v11, v11, v21
	v_fma_f16 v21, v48, s2, v50
	global_store_dword v[0:1], v8, off
	v_lshlrev_b64 v[0:1], 2, v[4:5]
	v_mad_u64_u32 v[4:5], s[0:1], s13, v15, v[2:3]
	v_add_f16_e32 v11, v11, v21
	v_fma_f16 v21, v51, s3, v53
	v_add_f16_e32 v11, v11, v21
	v_fma_f16 v21, v54, s4, v56
	v_add_f16_e32 v11, v11, v21
	v_add_co_u32_e32 v0, vcc, v9, v0
	v_addc_co_u32_e32 v1, vcc, v10, v1, vcc
	v_pack_b32_f16 v2, v11, v13
	v_mov_b32_e32 v7, v4
	global_store_dword v[0:1], v2, off
	v_lshlrev_b64 v[0:1], 2, v[6:7]
	v_add_u32_e32 v6, 0x14a, v3
	v_mad_u64_u32 v[4:5], s[0:1], s12, v6, 0
	v_add_u32_e32 v11, 0x1b8, v3
	v_add_f16_e32 v49, v49, v52
	v_mov_b32_e32 v2, v5
	v_mad_u64_u32 v[5:6], s[0:1], s13, v6, v[2:3]
	v_mad_u64_u32 v[6:7], s[0:1], s12, v11, 0
	v_add_co_u32_e32 v0, vcc, v9, v0
	v_addc_co_u32_e32 v1, vcc, v10, v1, vcc
	v_pack_b32_f16 v8, v49, v46
	v_mov_b32_e32 v2, v7
	global_store_dword v[0:1], v8, off
	v_lshlrev_b64 v[0:1], 2, v[4:5]
	v_mad_u64_u32 v[4:5], s[0:1], s13, v11, v[2:3]
	v_add_co_u32_e32 v0, vcc, v9, v0
	v_addc_co_u32_e32 v1, vcc, v10, v1, vcc
	v_pack_b32_f16 v2, v45, v31
	v_mov_b32_e32 v7, v4
	global_store_dword v[0:1], v2, off
	v_lshlrev_b64 v[0:1], 2, v[6:7]
	v_add_u32_e32 v6, 0x226, v3
	v_mad_u64_u32 v[4:5], s[0:1], s12, v6, 0
	v_add_u32_e32 v11, 0x294, v3
	v_add_co_u32_e32 v0, vcc, v9, v0
	v_mov_b32_e32 v2, v5
	v_mad_u64_u32 v[5:6], s[0:1], s13, v6, v[2:3]
	v_mad_u64_u32 v[6:7], s[0:1], s12, v11, 0
	v_addc_co_u32_e32 v1, vcc, v10, v1, vcc
	v_pack_b32_f16 v8, v18, v16
	v_mov_b32_e32 v2, v7
	global_store_dword v[0:1], v8, off
	v_lshlrev_b64 v[0:1], 2, v[4:5]
	v_mad_u64_u32 v[4:5], s[0:1], s13, v11, v[2:3]
	v_add_co_u32_e32 v0, vcc, v9, v0
	v_addc_co_u32_e32 v1, vcc, v10, v1, vcc
	v_pack_b32_f16 v2, v14, v12
	v_mov_b32_e32 v7, v4
	global_store_dword v[0:1], v2, off
	v_lshlrev_b64 v[0:1], 2, v[6:7]
	v_add_u32_e32 v6, 0x302, v3
	v_mad_u64_u32 v[4:5], s[0:1], s12, v6, 0
	v_add_u32_e32 v11, 0x370, v3
	v_add_f16_e32 v94, v94, v95
	v_mov_b32_e32 v2, v5
	v_mad_u64_u32 v[5:6], s[0:1], s13, v6, v[2:3]
	v_mad_u64_u32 v[6:7], s[0:1], s12, v11, 0
	v_fma_f16 v95, v54, s2, -v55
	v_add_f16_e32 v94, v94, v95
	v_add_co_u32_e32 v0, vcc, v9, v0
	v_addc_co_u32_e32 v1, vcc, v10, v1, vcc
	v_pack_b32_f16 v8, v94, v93
	v_mov_b32_e32 v2, v7
	global_store_dword v[0:1], v8, off
	v_lshlrev_b64 v[0:1], 2, v[4:5]
	v_mad_u64_u32 v[4:5], s[0:1], s13, v11, v[2:3]
	v_add_co_u32_e32 v0, vcc, v9, v0
	v_addc_co_u32_e32 v1, vcc, v10, v1, vcc
	v_pack_b32_f16 v2, v88, v82
	v_mov_b32_e32 v7, v4
	global_store_dword v[0:1], v2, off
	v_lshlrev_b64 v[0:1], 2, v[6:7]
	v_add_u32_e32 v6, 0x3de, v3
	v_mad_u64_u32 v[4:5], s[0:1], s12, v6, 0
	v_add_co_u32_e32 v0, vcc, v9, v0
	v_mov_b32_e32 v2, v5
	v_mad_u64_u32 v[5:6], s[0:1], s13, v6, v[2:3]
	v_add_u32_e32 v6, 0x44c, v3
	v_mad_u64_u32 v[2:3], s[0:1], s12, v6, 0
	v_addc_co_u32_e32 v1, vcc, v10, v1, vcc
	v_pack_b32_f16 v7, v76, v70
	global_store_dword v[0:1], v7, off
	v_lshlrev_b64 v[0:1], 2, v[4:5]
	v_mad_u64_u32 v[3:4], s[0:1], s13, v6, v[3:4]
	v_add_co_u32_e32 v0, vcc, v9, v0
	v_addc_co_u32_e32 v1, vcc, v10, v1, vcc
	v_pack_b32_f16 v4, v64, v58
	global_store_dword v[0:1], v4, off
	v_lshlrev_b64 v[0:1], 2, v[2:3]
	v_pack_b32_f16 v2, v33, v30
	v_add_co_u32_e32 v0, vcc, v9, v0
	v_addc_co_u32_e32 v1, vcc, v10, v1, vcc
	global_store_dword v[0:1], v2, off
.LBB0_29:
	s_endpgm
	.section	.rodata,"a",@progbits
	.p2align	6, 0x0
	.amdhsa_kernel fft_rtc_back_len1210_factors_2_5_11_11_wgs_110_tpt_110_halfLds_half_ip_CI_sbrr_dirReg
		.amdhsa_group_segment_fixed_size 0
		.amdhsa_private_segment_fixed_size 0
		.amdhsa_kernarg_size 88
		.amdhsa_user_sgpr_count 6
		.amdhsa_user_sgpr_private_segment_buffer 1
		.amdhsa_user_sgpr_dispatch_ptr 0
		.amdhsa_user_sgpr_queue_ptr 0
		.amdhsa_user_sgpr_kernarg_segment_ptr 1
		.amdhsa_user_sgpr_dispatch_id 0
		.amdhsa_user_sgpr_flat_scratch_init 0
		.amdhsa_user_sgpr_private_segment_size 0
		.amdhsa_uses_dynamic_stack 0
		.amdhsa_system_sgpr_private_segment_wavefront_offset 0
		.amdhsa_system_sgpr_workgroup_id_x 1
		.amdhsa_system_sgpr_workgroup_id_y 0
		.amdhsa_system_sgpr_workgroup_id_z 0
		.amdhsa_system_sgpr_workgroup_info 0
		.amdhsa_system_vgpr_workitem_id 0
		.amdhsa_next_free_vgpr 96
		.amdhsa_next_free_sgpr 24
		.amdhsa_reserve_vcc 1
		.amdhsa_reserve_flat_scratch 0
		.amdhsa_float_round_mode_32 0
		.amdhsa_float_round_mode_16_64 0
		.amdhsa_float_denorm_mode_32 3
		.amdhsa_float_denorm_mode_16_64 3
		.amdhsa_dx10_clamp 1
		.amdhsa_ieee_mode 1
		.amdhsa_fp16_overflow 0
		.amdhsa_exception_fp_ieee_invalid_op 0
		.amdhsa_exception_fp_denorm_src 0
		.amdhsa_exception_fp_ieee_div_zero 0
		.amdhsa_exception_fp_ieee_overflow 0
		.amdhsa_exception_fp_ieee_underflow 0
		.amdhsa_exception_fp_ieee_inexact 0
		.amdhsa_exception_int_div_zero 0
	.end_amdhsa_kernel
	.text
.Lfunc_end0:
	.size	fft_rtc_back_len1210_factors_2_5_11_11_wgs_110_tpt_110_halfLds_half_ip_CI_sbrr_dirReg, .Lfunc_end0-fft_rtc_back_len1210_factors_2_5_11_11_wgs_110_tpt_110_halfLds_half_ip_CI_sbrr_dirReg
                                        ; -- End function
	.section	.AMDGPU.csdata,"",@progbits
; Kernel info:
; codeLenInByte = 10368
; NumSgprs: 28
; NumVgprs: 96
; ScratchSize: 0
; MemoryBound: 0
; FloatMode: 240
; IeeeMode: 1
; LDSByteSize: 0 bytes/workgroup (compile time only)
; SGPRBlocks: 3
; VGPRBlocks: 23
; NumSGPRsForWavesPerEU: 28
; NumVGPRsForWavesPerEU: 96
; Occupancy: 2
; WaveLimiterHint : 1
; COMPUTE_PGM_RSRC2:SCRATCH_EN: 0
; COMPUTE_PGM_RSRC2:USER_SGPR: 6
; COMPUTE_PGM_RSRC2:TRAP_HANDLER: 0
; COMPUTE_PGM_RSRC2:TGID_X_EN: 1
; COMPUTE_PGM_RSRC2:TGID_Y_EN: 0
; COMPUTE_PGM_RSRC2:TGID_Z_EN: 0
; COMPUTE_PGM_RSRC2:TIDIG_COMP_CNT: 0
	.type	__hip_cuid_5582e6bf01179a9d,@object ; @__hip_cuid_5582e6bf01179a9d
	.section	.bss,"aw",@nobits
	.globl	__hip_cuid_5582e6bf01179a9d
__hip_cuid_5582e6bf01179a9d:
	.byte	0                               ; 0x0
	.size	__hip_cuid_5582e6bf01179a9d, 1

	.ident	"AMD clang version 19.0.0git (https://github.com/RadeonOpenCompute/llvm-project roc-6.4.0 25133 c7fe45cf4b819c5991fe208aaa96edf142730f1d)"
	.section	".note.GNU-stack","",@progbits
	.addrsig
	.addrsig_sym __hip_cuid_5582e6bf01179a9d
	.amdgpu_metadata
---
amdhsa.kernels:
  - .args:
      - .actual_access:  read_only
        .address_space:  global
        .offset:         0
        .size:           8
        .value_kind:     global_buffer
      - .offset:         8
        .size:           8
        .value_kind:     by_value
      - .actual_access:  read_only
        .address_space:  global
        .offset:         16
        .size:           8
        .value_kind:     global_buffer
      - .actual_access:  read_only
        .address_space:  global
        .offset:         24
        .size:           8
        .value_kind:     global_buffer
      - .offset:         32
        .size:           8
        .value_kind:     by_value
      - .actual_access:  read_only
        .address_space:  global
        .offset:         40
        .size:           8
        .value_kind:     global_buffer
      - .actual_access:  read_only
        .address_space:  global
        .offset:         48
        .size:           8
        .value_kind:     global_buffer
      - .offset:         56
        .size:           4
        .value_kind:     by_value
      - .actual_access:  read_only
        .address_space:  global
        .offset:         64
        .size:           8
        .value_kind:     global_buffer
      - .actual_access:  read_only
        .address_space:  global
        .offset:         72
        .size:           8
        .value_kind:     global_buffer
      - .address_space:  global
        .offset:         80
        .size:           8
        .value_kind:     global_buffer
    .group_segment_fixed_size: 0
    .kernarg_segment_align: 8
    .kernarg_segment_size: 88
    .language:       OpenCL C
    .language_version:
      - 2
      - 0
    .max_flat_workgroup_size: 110
    .name:           fft_rtc_back_len1210_factors_2_5_11_11_wgs_110_tpt_110_halfLds_half_ip_CI_sbrr_dirReg
    .private_segment_fixed_size: 0
    .sgpr_count:     28
    .sgpr_spill_count: 0
    .symbol:         fft_rtc_back_len1210_factors_2_5_11_11_wgs_110_tpt_110_halfLds_half_ip_CI_sbrr_dirReg.kd
    .uniform_work_group_size: 1
    .uses_dynamic_stack: false
    .vgpr_count:     96
    .vgpr_spill_count: 0
    .wavefront_size: 64
amdhsa.target:   amdgcn-amd-amdhsa--gfx906
amdhsa.version:
  - 1
  - 2
...

	.end_amdgpu_metadata
